;; amdgpu-corpus repo=zjin-lcf/HeCBench kind=compiled arch=gfx1030 opt=O3
	.amdgcn_target "amdgcn-amd-amdhsa--gfx1030"
	.amdhsa_code_object_version 6
	.text
	.protected	_Z22FP8TrtAddQKVBiasKernel21FP8TrtAddQKVBiasParamI19__hip_fp8_e4m3_fnuz14__hip_bfloat16E ; -- Begin function _Z22FP8TrtAddQKVBiasKernel21FP8TrtAddQKVBiasParamI19__hip_fp8_e4m3_fnuz14__hip_bfloat16E
	.globl	_Z22FP8TrtAddQKVBiasKernel21FP8TrtAddQKVBiasParamI19__hip_fp8_e4m3_fnuz14__hip_bfloat16E
	.p2align	8
	.type	_Z22FP8TrtAddQKVBiasKernel21FP8TrtAddQKVBiasParamI19__hip_fp8_e4m3_fnuz14__hip_bfloat16E,@function
_Z22FP8TrtAddQKVBiasKernel21FP8TrtAddQKVBiasParamI19__hip_fp8_e4m3_fnuz14__hip_bfloat16E: ; @_Z22FP8TrtAddQKVBiasKernel21FP8TrtAddQKVBiasParamI19__hip_fp8_e4m3_fnuz14__hip_bfloat16E
; %bb.0:
	s_clause 0x1
	s_load_dwordx2 s[0:1], s[4:5], 0x30
	s_load_dwordx8 s[8:15], s[4:5], 0x0
	v_mov_b32_e32 v15, 0
	v_mov_b32_e32 v14, 0
	s_waitcnt lgkmcnt(0)
	s_mul_i32 s2, s6, s1
	s_mul_i32 s2, s2, 3
	s_add_u32 s6, s10, s2
	s_addc_u32 s7, s11, 0
	s_ashr_i32 s3, s1, 31
	s_ashr_i32 s10, s0, 31
	s_lshr_b32 s3, s3, 30
	s_lshr_b32 s10, s10, 30
	s_add_i32 s1, s1, s3
	s_add_i32 s0, s0, s10
	s_ashr_i32 s1, s1, 2
	s_ashr_i32 s3, s0, 2
	v_mul_lo_u32 v3, s1, v2
	v_mul_lo_u32 v4, s3, v1
	v_add3_u32 v3, v4, v0, v3
	v_ashrrev_i32_e32 v4, 31, v3
	v_lshlrev_b64 v[4:5], 2, v[3:4]
	v_add_co_u32 v4, vcc_lo, s6, v4
	v_add_co_ci_u32_e64 v5, null, s7, v5, vcc_lo
	global_load_dword v6, v[4:5], off
	s_waitcnt vmcnt(0)
	v_cmp_ne_u16_sdwa s1, v6, v15 src0_sel:BYTE_0 src1_sel:DWORD
	s_and_saveexec_b32 s0, s1
	s_cbranch_execz .LBB0_6
; %bb.1:
	v_mov_b32_e32 v4, 0x80
	v_mov_b32_e32 v14, 0x7fc0
	v_cmp_ne_u16_sdwa s6, v6, v4 src0_sel:BYTE_0 src1_sel:DWORD
	s_and_saveexec_b32 s1, s6
	s_cbranch_execz .LBB0_5
; %bb.2:
	v_bfe_u32 v7, v6, 3, 4
	v_and_b32_e32 v4, 7, v6
	v_mov_b32_e32 v5, 0
	s_mov_b32 s6, exec_lo
	v_cmpx_eq_u32_e32 0, v7
; %bb.3:
	v_ffbh_u32_e32 v7, v4
	v_min_u32_e32 v7, 32, v7
	v_subrev_nc_u32_e32 v8, 28, v7
	v_sub_nc_u32_e32 v7, 29, v7
	v_lshlrev_b64 v[4:5], v8, v[4:5]
	v_and_b32_e32 v4, 7, v4
; %bb.4:
	s_or_b32 exec_lo, exec_lo, s6
	v_lshlrev_b32_e32 v5, 24, v6
	v_lshlrev_b32_e32 v4, 20, v4
	v_lshl_add_u32 v7, v7, 23, 0x3b800000
	v_and_b32_e32 v5, 0x80000000, v5
	v_or3_b32 v4, v4, v5, v7
	v_mov_b32_e32 v5, 0x400000
	v_cmp_u_f32_e32 vcc_lo, v4, v4
	v_cndmask_b32_e32 v5, 0x7fff, v5, vcc_lo
	v_or_b32_e32 v4, v4, v5
	v_lshrrev_b32_e32 v14, 16, v4
.LBB0_5:
	s_or_b32 exec_lo, exec_lo, s1
.LBB0_6:
	s_or_b32 exec_lo, exec_lo, s0
	s_load_dwordx2 s[0:1], s[4:5], 0x20
	v_lshrrev_b32_e32 v4, 8, v6
	v_cmp_ne_u16_sdwa s5, v4, v15 src0_sel:BYTE_0 src1_sel:DWORD
	s_and_saveexec_b32 s4, s5
	s_cbranch_execz .LBB0_12
; %bb.7:
	v_mov_b32_e32 v5, 0x80
	v_mov_b32_e32 v15, 0x7fc0
	v_cmp_ne_u16_sdwa s6, v4, v5 src0_sel:BYTE_0 src1_sel:DWORD
	s_and_saveexec_b32 s5, s6
	s_cbranch_execz .LBB0_11
; %bb.8:
	v_bfe_u32 v7, v6, 11, 4
	v_bfe_u32 v4, v6, 8, 3
	v_mov_b32_e32 v5, 0
	s_mov_b32 s6, exec_lo
	v_cmpx_eq_u32_e32 0, v7
; %bb.9:
	v_ffbh_u32_e32 v7, v4
	v_min_u32_e32 v7, 32, v7
	v_subrev_nc_u32_e32 v8, 28, v7
	v_sub_nc_u32_e32 v7, 29, v7
	v_lshlrev_b64 v[4:5], v8, v[4:5]
	v_and_b32_e32 v4, 7, v4
; %bb.10:
	s_or_b32 exec_lo, exec_lo, s6
	v_lshlrev_b32_e32 v5, 16, v6
	v_lshlrev_b32_e32 v4, 20, v4
	v_lshl_add_u32 v7, v7, 23, 0x3b800000
	v_and_b32_e32 v5, 0x80000000, v5
	v_or3_b32 v4, v4, v5, v7
	v_mov_b32_e32 v5, 0x400000
	v_cmp_u_f32_e32 vcc_lo, v4, v4
	v_cndmask_b32_e32 v5, 0x7fff, v5, vcc_lo
	v_or_b32_e32 v4, v4, v5
	v_lshrrev_b32_e32 v15, 16, v4
.LBB0_11:
	s_or_b32 exec_lo, exec_lo, s5
.LBB0_12:
	s_or_b32 exec_lo, exec_lo, s4
	v_mov_b32_e32 v4, 0xff
	v_mov_b32_e32 v8, 0
	;; [unrolled: 1-line block ×3, first 2 shown]
	s_mov_b32 s4, exec_lo
	v_and_b32_sdwa v4, v6, v4 dst_sel:DWORD dst_unused:UNUSED_PAD src0_sel:WORD_1 src1_sel:DWORD
	v_cmpx_ne_u16_e32 0, v4
	s_cbranch_execz .LBB0_18
; %bb.13:
	v_mov_b32_e32 v7, 0x7fc0
	s_mov_b32 s5, exec_lo
	v_cmpx_ne_u16_e32 0x80, v4
	s_cbranch_execz .LBB0_17
; %bb.14:
	v_bfe_u32 v7, v6, 19, 4
	v_bfe_u32 v4, v6, 16, 3
	v_mov_b32_e32 v5, 0
	s_mov_b32 s6, exec_lo
	v_cmpx_eq_u32_e32 0, v7
; %bb.15:
	v_ffbh_u32_e32 v7, v4
	v_min_u32_e32 v7, 32, v7
	v_subrev_nc_u32_e32 v9, 28, v7
	v_sub_nc_u32_e32 v7, 29, v7
	v_lshlrev_b64 v[4:5], v9, v[4:5]
	v_and_b32_e32 v4, 7, v4
; %bb.16:
	s_or_b32 exec_lo, exec_lo, s6
	v_lshlrev_b32_e32 v5, 8, v6
	v_lshlrev_b32_e32 v4, 20, v4
	v_lshl_add_u32 v7, v7, 23, 0x3b800000
	v_and_b32_e32 v5, 0x80000000, v5
	v_or3_b32 v4, v4, v5, v7
	v_mov_b32_e32 v5, 0x400000
	v_cmp_u_f32_e32 vcc_lo, v4, v4
	v_cndmask_b32_e32 v5, 0x7fff, v5, vcc_lo
	v_or_b32_e32 v4, v4, v5
	v_lshrrev_b32_e32 v7, 16, v4
.LBB0_17:
	s_or_b32 exec_lo, exec_lo, s5
.LBB0_18:
	s_or_b32 exec_lo, exec_lo, s4
	s_mov_b32 s4, exec_lo
	v_cmpx_lt_u32_e32 0xffffff, v6
	s_cbranch_execz .LBB0_24
; %bb.19:
	v_mov_b32_e32 v4, 0x80
	v_mov_b32_e32 v8, 0x7fc0
	v_cmp_ne_u32_sdwa s6, v6, v4 src0_sel:BYTE_3 src1_sel:DWORD
	s_and_saveexec_b32 s5, s6
	s_cbranch_execz .LBB0_23
; %bb.20:
	v_bfe_u32 v8, v6, 27, 4
	v_mov_b32_e32 v5, 0
	v_bfe_u32 v4, v6, 24, 3
	s_mov_b32 s6, exec_lo
	v_cmpx_eq_u32_e32 0, v8
; %bb.21:
	v_ffbh_u32_e32 v8, v4
	v_min_u32_e32 v8, 32, v8
	v_subrev_nc_u32_e32 v9, 28, v8
	v_sub_nc_u32_e32 v8, 29, v8
	v_lshlrev_b64 v[4:5], v9, v[4:5]
	v_and_b32_e32 v4, 7, v4
; %bb.22:
	s_or_b32 exec_lo, exec_lo, s6
	v_mov_b32_e32 v5, 24
	v_lshlrev_b32_e32 v4, 20, v4
	v_lshlrev_b32_sdwa v5, v5, v6 dst_sel:DWORD dst_unused:UNUSED_PAD src0_sel:DWORD src1_sel:BYTE_3
	v_lshl_add_u32 v6, v8, 23, 0x3b800000
	v_and_b32_e32 v5, 0x80000000, v5
	v_or3_b32 v4, v4, v5, v6
	v_mov_b32_e32 v5, 0x400000
	v_cmp_u_f32_e32 vcc_lo, v4, v4
	v_cndmask_b32_e32 v5, 0x7fff, v5, vcc_lo
	v_or_b32_e32 v4, v4, v5
	v_lshrrev_b32_e32 v8, 16, v4
.LBB0_23:
	s_or_b32 exec_lo, exec_lo, s5
.LBB0_24:
	s_or_b32 exec_lo, exec_lo, s4
	v_lshlrev_b32_e32 v3, 1, v3
	v_mov_b32_e32 v16, 0x80
	v_ashrrev_i32_e32 v4, 31, v3
	v_lshlrev_b64 v[3:4], 2, v[3:4]
	v_add_co_u32 v3, vcc_lo, s12, v3
	v_add_co_ci_u32_e64 v4, null, s13, v4, vcc_lo
	global_load_dwordx2 v[5:6], v[3:4], off
	s_load_dword s4, s[14:15], 0x0
	s_waitcnt lgkmcnt(0)
	s_load_dword s0, s[0:1], 0x0
	v_lshlrev_b32_e32 v3, 16, v8
	v_lshlrev_b32_e32 v4, 16, v7
	s_bfe_u32 s1, s4, 0x10010
	v_cmp_u_f32_e64 s5, s4, s4
	s_add_i32 s1, s1, s4
	s_or_b32 s6, s4, 0x400000
	s_addk_i32 s1, 0x7fff
	s_waitcnt lgkmcnt(0)
	v_cmp_u_f32_e64 s4, s0, s0
	s_and_b32 s5, s5, exec_lo
	s_cselect_b32 s5, s6, s1
	s_bfe_u32 s1, s0, 0x10010
	s_or_b32 s6, s0, 0x400000
	s_add_i32 s0, s1, s0
	s_lshr_b32 s1, s5, 16
	s_addk_i32 s0, 0x7fff
	s_and_b32 s4, s4, exec_lo
	s_cselect_b32 s0, s6, s0
	s_and_b32 s4, s5, 0xffff0000
	s_lshr_b32 s5, s0, 16
	s_waitcnt vmcnt(0)
	v_and_b32_e32 v7, 0xffff0000, v6
	v_lshlrev_b32_e32 v6, 16, v6
	v_fmac_f32_e32 v7, s4, v3
	v_fmac_f32_e32 v6, s4, v4
	s_and_b32 s4, s0, 0xffff0000
	v_bfe_u32 v3, v7, 16, 1
	v_bfe_u32 v4, v6, 16, 1
	v_or_b32_e32 v8, 0x400000, v7
	v_cmp_u_f32_e32 vcc_lo, v7, v7
	v_or_b32_e32 v9, 0x400000, v6
	v_add3_u32 v3, v3, v7, 0x7fff
	v_add3_u32 v4, v4, v6, 0x7fff
	v_cndmask_b32_e32 v3, v3, v8, vcc_lo
	v_cmp_u_f32_e32 vcc_lo, v6, v6
	v_and_b32_e32 v3, 0xffff0000, v3
	v_cndmask_b32_e32 v4, v4, v9, vcc_lo
	v_mul_f32_e32 v3, s4, v3
	v_and_b32_e32 v4, 0xffff0000, v4
	v_bfe_u32 v6, v3, 16, 1
	v_mul_f32_e32 v4, s4, v4
	v_or_b32_e32 v8, 0x400000, v3
	v_cmp_u_f32_e32 vcc_lo, v3, v3
	s_mov_b32 s4, exec_lo
	v_add3_u32 v6, v6, v3, 0x7fff
	v_bfe_u32 v7, v4, 16, 1
	v_or_b32_e32 v9, 0x400000, v4
	v_cndmask_b32_e32 v8, v6, v8, vcc_lo
	v_add3_u32 v10, v7, v4, 0x7fff
	v_cmp_u_f32_e32 vcc_lo, v4, v4
	v_mov_b32_e32 v7, 0
	v_mov_b32_e32 v4, 0x80
	v_and_b32_e32 v6, 0x7f800000, v8
	v_cndmask_b32_e32 v3, v10, v9, vcc_lo
	v_perm_b32 v3, v8, v3, 0x7060302
	v_cmpx_ne_u64_e32 0x7f800000, v[6:7]
	s_cbranch_execz .LBB0_38
; %bb.25:
	v_and_b32_e32 v17, 0xffff0000, v8
                                        ; implicit-def: $vgpr16
	s_mov_b32 s0, exec_lo
	v_and_b32_e32 v6, 0x7fffffff, v17
	v_cmpx_gt_u64_e32 0x43700001, v[6:7]
	s_xor_b32 s6, exec_lo, s0
	s_cbranch_execz .LBB0_35
; %bb.26:
	v_mov_b32_e32 v16, 0
	s_mov_b32 s7, exec_lo
	v_cmpx_ne_u32_e32 0, v17
	s_cbranch_execz .LBB0_34
; %bb.27:
	v_bfe_u32 v6, v17, 23, 8
	v_sub_nc_u32_e32 v8, 0x78, v6
	v_cmp_gt_u32_e32 vcc_lo, 0x79, v6
	v_cndmask_b32_e32 v8, 0, v8, vcc_lo
	v_cmp_eq_u32_e32 vcc_lo, 0, v6
	v_cndmask_b32_e64 v16, v8, 0x77, vcc_lo
	v_and_b32_e32 v8, 0x7fffff, v17
	v_add_nc_u32_e32 v9, 20, v16
	v_or_b32_e32 v12, 0x800000, v8
	v_add_nc_u32_e32 v13, 19, v16
	v_lshlrev_b64 v[10:11], v9, -1
	v_cndmask_b32_e32 v8, v12, v8, vcc_lo
	v_mov_b32_e32 v9, 0
	v_lshlrev_b64 v[12:13], v13, 1
	v_bfi_b32 v19, v11, 0, 0
	v_bfi_b32 v18, v10, 0, v8
	v_lshrrev_b64 v[10:11], v16, v[8:9]
	v_cmp_eq_u64_e64 s0, v[18:19], v[12:13]
	v_mov_b32_e32 v13, v11
	v_mov_b32_e32 v12, v10
	s_and_saveexec_b32 s10, s0
; %bb.28:
	v_bfe_u32 v8, v10, 20, 1
	v_add_co_u32 v8, s0, v10, v8
	v_add_co_ci_u32_e64 v11, null, 0, v11, s0
	v_add_co_u32 v12, s0, v8, -1
	v_add_co_ci_u32_e64 v8, null, -1, v11, s0
; %bb.29:
	s_or_b32 exec_lo, exec_lo, s10
	v_add_nc_u32_e32 v6, 0xffffff81, v6
	v_lshrrev_b32_e32 v8, 23, v10
	s_mov_b32 s0, exec_lo
	v_cndmask_b32_e64 v6, v6, 0xffffff82, vcc_lo
	v_add3_u32 v11, v16, v6, v8
	v_and_b32_e32 v6, 0xfffff, v12
	v_add_nc_u32_e32 v12, 7, v11
	v_add_nc_u32_e32 v8, v6, v10
                                        ; implicit-def: $vgpr6
	v_cmpx_ne_u32_e32 0, v12
	s_xor_b32 s0, exec_lo, s0
; %bb.30:
	v_cmp_lt_u64_e32 vcc_lo, 0xffffff, v[8:9]
	v_add_nc_u32_e32 v6, 8, v11
	v_cndmask_b32_e64 v10, 0, 1, vcc_lo
	v_cndmask_b32_e32 v6, v12, v6, vcc_lo
	v_lshrrev_b64 v[8:9], v10, v[8:9]
; %bb.31:
	s_andn2_saveexec_b32 s0, s0
; %bb.32:
	v_bfe_u32 v6, v8, 23, 1
; %bb.33:
	s_or_b32 exec_lo, exec_lo, s0
	v_lshrrev_b64 v[8:9], 20, v[8:9]
	v_cmp_gt_i32_e32 vcc_lo, 16, v6
	v_min_i32_e32 v10, 15, v6
	v_mov_b32_e32 v11, 0x80
	v_cmp_eq_u32_e64 s0, 0, v6
	v_cndmask_b32_e32 v8, 7, v8, vcc_lo
	v_lshlrev_b32_e32 v10, 3, v10
	v_cndmask_b32_e32 v9, 0, v9, vcc_lo
	v_and_b32_sdwa v11, v17, v11 dst_sel:DWORD dst_unused:UNUSED_PAD src0_sel:BYTE_3 src1_sel:DWORD
	v_and_b32_e32 v12, 7, v8
	v_and_b32_e32 v10, 0xf8, v10
	v_cmp_eq_u64_e32 vcc_lo, 0, v[8:9]
	v_or3_b32 v6, v10, v11, v12
	s_and_b32 s0, s0, vcc_lo
	v_cndmask_b32_e64 v16, v6, 0, s0
.LBB0_34:
	s_or_b32 exec_lo, exec_lo, s7
                                        ; implicit-def: $vgpr17
.LBB0_35:
	s_andn2_saveexec_b32 s0, s6
; %bb.36:
	v_mov_b32_e32 v6, 0x7f
	v_or_b32_sdwa v16, v17, v6 dst_sel:DWORD dst_unused:UNUSED_PAD src0_sel:BYTE_3 src1_sel:DWORD
; %bb.37:
	s_or_b32 exec_lo, exec_lo, s0
.LBB0_38:
	s_or_b32 exec_lo, exec_lo, s4
	v_lshlrev_b32_e32 v10, 16, v3
	s_pack_ll_b32_b16 s4, s1, s1
	s_pack_ll_b32_b16 s1, s5, s5
	s_mov_b32 s5, exec_lo
	v_and_b32_e32 v6, 0x7f800000, v10
	v_cmpx_ne_u64_e32 0x7f800000, v[6:7]
	s_cbranch_execz .LBB0_52
; %bb.39:
	v_and_b32_e32 v3, 0x7fffffff, v10
	v_mov_b32_e32 v4, 0
	s_mov_b32 s0, exec_lo
	v_cmpx_gt_u64_e32 0x43700001, v[3:4]
	s_xor_b32 s6, exec_lo, s0
	s_cbranch_execz .LBB0_49
; %bb.40:
	s_mov_b32 s7, exec_lo
	v_cmpx_ne_u32_e32 0, v10
	s_cbranch_execz .LBB0_48
; %bb.41:
	v_bfe_u32 v11, v10, 23, 8
	v_sub_nc_u32_e32 v3, 0x78, v11
	v_cmp_gt_u32_e32 vcc_lo, 0x79, v11
	v_cndmask_b32_e32 v3, 0, v3, vcc_lo
	v_cmp_eq_u32_e32 vcc_lo, 0, v11
	v_cndmask_b32_e64 v12, v3, 0x77, vcc_lo
	v_and_b32_e32 v3, 0x7fffff, v10
	v_add_nc_u32_e32 v4, 20, v12
	v_or_b32_e32 v8, 0x800000, v3
	v_add_nc_u32_e32 v9, 19, v12
	v_lshlrev_b64 v[6:7], v4, -1
	v_cndmask_b32_e32 v3, v8, v3, vcc_lo
	v_mov_b32_e32 v4, 0
	v_lshlrev_b64 v[8:9], v9, 1
	v_bfi_b32 v18, v7, 0, 0
	v_bfi_b32 v17, v6, 0, v3
	v_lshrrev_b64 v[6:7], v12, v[3:4]
	v_cmp_eq_u64_e64 s0, v[17:18], v[8:9]
	v_mov_b32_e32 v9, v7
	v_mov_b32_e32 v8, v6
	s_and_saveexec_b32 s10, s0
; %bb.42:
	v_bfe_u32 v3, v6, 20, 1
	v_add_co_u32 v3, s0, v6, v3
	v_add_co_ci_u32_e64 v7, null, 0, v7, s0
	v_add_co_u32 v8, s0, v3, -1
	v_add_co_ci_u32_e64 v3, null, -1, v7, s0
; %bb.43:
	s_or_b32 exec_lo, exec_lo, s10
	v_add_nc_u32_e32 v3, 0xffffff81, v11
	v_lshrrev_b32_e32 v7, 23, v6
	s_mov_b32 s0, exec_lo
	v_cndmask_b32_e64 v3, v3, 0xffffff82, vcc_lo
	v_add3_u32 v7, v12, v3, v7
	v_and_b32_e32 v3, 0xfffff, v8
	v_add_nc_u32_e32 v8, 7, v7
	v_add_nc_u32_e32 v3, v3, v6
                                        ; implicit-def: $vgpr6
	v_cmpx_ne_u32_e32 0, v8
	s_xor_b32 s0, exec_lo, s0
; %bb.44:
	v_cmp_lt_u64_e32 vcc_lo, 0xffffff, v[3:4]
	v_add_nc_u32_e32 v6, 8, v7
	v_cndmask_b32_e64 v7, 0, 1, vcc_lo
	v_cndmask_b32_e32 v6, v8, v6, vcc_lo
	v_lshrrev_b64 v[3:4], v7, v[3:4]
; %bb.45:
	s_andn2_saveexec_b32 s0, s0
; %bb.46:
	v_bfe_u32 v6, v3, 23, 1
; %bb.47:
	s_or_b32 exec_lo, exec_lo, s0
	v_lshrrev_b64 v[3:4], 20, v[3:4]
	v_cmp_gt_i32_e32 vcc_lo, 16, v6
	v_min_i32_e32 v7, 15, v6
	v_mov_b32_e32 v8, 0x80
	v_cmp_eq_u32_e64 s0, 0, v6
	v_cndmask_b32_e32 v3, 7, v3, vcc_lo
	v_lshlrev_b32_e32 v7, 3, v7
	v_cndmask_b32_e32 v4, 0, v4, vcc_lo
	v_and_b32_sdwa v8, v10, v8 dst_sel:DWORD dst_unused:UNUSED_PAD src0_sel:BYTE_3 src1_sel:DWORD
	v_and_b32_e32 v9, 7, v3
	v_and_b32_e32 v7, 0xf8, v7
	v_cmp_eq_u64_e32 vcc_lo, 0, v[3:4]
	v_or3_b32 v3, v7, v8, v9
	s_and_b32 s0, s0, vcc_lo
	v_cndmask_b32_e64 v4, v3, 0, s0
.LBB0_48:
	s_or_b32 exec_lo, exec_lo, s7
                                        ; implicit-def: $vgpr10
.LBB0_49:
	s_andn2_saveexec_b32 s0, s6
; %bb.50:
	v_mov_b32_e32 v3, 0x7f
	v_or_b32_sdwa v4, v10, v3 dst_sel:DWORD dst_unused:UNUSED_PAD src0_sel:BYTE_3 src1_sel:DWORD
; %bb.51:
	s_or_b32 exec_lo, exec_lo, s0
.LBB0_52:
	s_or_b32 exec_lo, exec_lo, s5
	v_and_b32_e32 v3, 0xffff0000, v5
	v_lshlrev_b32_e32 v6, 16, v15
	s_and_b32 s0, s4, 0xffff0000
	v_lshlrev_b32_e32 v5, 16, v5
	v_lshlrev_b32_e32 v7, 16, v14
	v_fmac_f32_e32 v3, s0, v6
	s_lshl_b32 s0, s4, 16
	v_fmac_f32_e32 v5, s0, v7
	s_and_b32 s0, s1, 0xffff0000
	v_bfe_u32 v6, v3, 16, 1
	v_or_b32_e32 v8, 0x400000, v3
	v_cmp_u_f32_e32 vcc_lo, v3, v3
	v_bfe_u32 v7, v5, 16, 1
	v_or_b32_e32 v9, 0x400000, v5
	v_add3_u32 v6, v6, v3, 0x7fff
	v_add3_u32 v7, v7, v5, 0x7fff
	v_cndmask_b32_e32 v3, v6, v8, vcc_lo
	v_cmp_u_f32_e32 vcc_lo, v5, v5
	v_and_b32_e32 v3, 0xffff0000, v3
	v_cndmask_b32_e32 v5, v7, v9, vcc_lo
	v_mul_f32_e32 v3, s0, v3
	v_and_b32_e32 v5, 0xffff0000, v5
	s_lshl_b32 s0, s1, 16
	s_mov_b32 s1, exec_lo
	v_bfe_u32 v6, v3, 16, 1
	v_mul_f32_e32 v5, s0, v5
	v_or_b32_e32 v8, 0x400000, v3
	v_cmp_u_f32_e32 vcc_lo, v3, v3
	v_add3_u32 v6, v6, v3, 0x7fff
	v_bfe_u32 v7, v5, 16, 1
	v_or_b32_e32 v10, 0x400000, v5
	v_cndmask_b32_e32 v9, v6, v8, vcc_lo
	v_add3_u32 v7, v7, v5, 0x7fff
	v_cmp_u_f32_e32 vcc_lo, v5, v5
	v_mov_b32_e32 v8, 0
	v_mov_b32_e32 v6, 0x80
	v_cndmask_b32_e32 v3, v7, v10, vcc_lo
	v_and_b32_e32 v7, 0x7f800000, v9
	v_perm_b32 v5, v9, v3, 0x7060302
	v_mov_b32_e32 v3, 0x80
	v_cmpx_ne_u64_e32 0x7f800000, v[7:8]
	s_cbranch_execz .LBB0_66
; %bb.53:
	v_and_b32_e32 v15, 0xffff0000, v9
                                        ; implicit-def: $vgpr3
	s_mov_b32 s0, exec_lo
	v_and_b32_e32 v7, 0x7fffffff, v15
	v_cmpx_gt_u64_e32 0x43700001, v[7:8]
	s_xor_b32 s4, exec_lo, s0
	s_cbranch_execz .LBB0_63
; %bb.54:
	v_mov_b32_e32 v3, 0
	s_mov_b32 s5, exec_lo
	v_cmpx_ne_u32_e32 0, v15
	s_cbranch_execz .LBB0_62
; %bb.55:
	v_bfe_u32 v3, v15, 23, 8
	v_and_b32_e32 v9, 0x7fffff, v15
	v_sub_nc_u32_e32 v7, 0x78, v3
	v_cmp_gt_u32_e32 vcc_lo, 0x79, v3
	v_or_b32_e32 v13, 0x800000, v9
	v_cndmask_b32_e32 v7, 0, v7, vcc_lo
	v_cmp_eq_u32_e32 vcc_lo, 0, v3
	v_cndmask_b32_e64 v7, v7, 0x77, vcc_lo
	v_cndmask_b32_e32 v9, v13, v9, vcc_lo
	v_add_nc_u32_e32 v10, 20, v7
	v_add_nc_u32_e32 v14, 19, v7
	v_lshlrev_b64 v[11:12], v10, -1
	v_mov_b32_e32 v10, 0
	v_lshlrev_b64 v[13:14], v14, 1
	v_bfi_b32 v18, v12, 0, 0
	v_bfi_b32 v17, v11, 0, v9
	v_lshrrev_b64 v[11:12], v7, v[9:10]
	v_cmp_eq_u64_e64 s0, v[17:18], v[13:14]
	v_mov_b32_e32 v14, v12
	v_mov_b32_e32 v13, v11
	s_and_saveexec_b32 s6, s0
; %bb.56:
	v_bfe_u32 v9, v11, 20, 1
	v_add_co_u32 v9, s0, v11, v9
	v_add_co_ci_u32_e64 v12, null, 0, v12, s0
	v_add_co_u32 v13, s0, v9, -1
	v_add_co_ci_u32_e64 v9, null, -1, v12, s0
; %bb.57:
	s_or_b32 exec_lo, exec_lo, s6
	v_add_nc_u32_e32 v3, 0xffffff81, v3
	v_lshrrev_b32_e32 v9, 23, v11
	s_mov_b32 s0, exec_lo
	v_cndmask_b32_e64 v3, v3, 0xffffff82, vcc_lo
	v_add3_u32 v7, v7, v3, v9
	v_and_b32_e32 v3, 0xfffff, v13
	v_add_nc_u32_e32 v12, 7, v7
	v_add_nc_u32_e32 v9, v3, v11
                                        ; implicit-def: $vgpr3
	v_cmpx_ne_u32_e32 0, v12
	s_xor_b32 s0, exec_lo, s0
; %bb.58:
	v_cmp_lt_u64_e32 vcc_lo, 0xffffff, v[9:10]
	v_add_nc_u32_e32 v3, 8, v7
	v_cndmask_b32_e64 v7, 0, 1, vcc_lo
	v_cndmask_b32_e32 v3, v12, v3, vcc_lo
	v_lshrrev_b64 v[9:10], v7, v[9:10]
; %bb.59:
	s_andn2_saveexec_b32 s0, s0
; %bb.60:
	v_bfe_u32 v3, v9, 23, 1
; %bb.61:
	s_or_b32 exec_lo, exec_lo, s0
	v_lshrrev_b64 v[9:10], 20, v[9:10]
	v_cmp_gt_i32_e32 vcc_lo, 16, v3
	v_min_i32_e32 v7, 15, v3
	v_mov_b32_e32 v11, 0x80
	v_cmp_eq_u32_e64 s0, 0, v3
	v_cndmask_b32_e32 v9, 7, v9, vcc_lo
	v_lshlrev_b32_e32 v7, 3, v7
	v_cndmask_b32_e32 v10, 0, v10, vcc_lo
	v_and_b32_sdwa v11, v15, v11 dst_sel:DWORD dst_unused:UNUSED_PAD src0_sel:BYTE_3 src1_sel:DWORD
	v_and_b32_e32 v12, 7, v9
	v_and_b32_e32 v7, 0xf8, v7
	v_cmp_eq_u64_e32 vcc_lo, 0, v[9:10]
	v_or3_b32 v3, v7, v11, v12
	s_and_b32 s0, s0, vcc_lo
	v_cndmask_b32_e64 v3, v3, 0, s0
.LBB0_62:
	s_or_b32 exec_lo, exec_lo, s5
                                        ; implicit-def: $vgpr15
.LBB0_63:
	s_andn2_saveexec_b32 s0, s4
; %bb.64:
	v_mov_b32_e32 v3, 0x7f
	v_or_b32_sdwa v3, v15, v3 dst_sel:DWORD dst_unused:UNUSED_PAD src0_sel:BYTE_3 src1_sel:DWORD
; %bb.65:
	s_or_b32 exec_lo, exec_lo, s0
.LBB0_66:
	s_or_b32 exec_lo, exec_lo, s1
	v_lshlrev_b32_e32 v11, 16, v5
	s_mov_b32 s1, exec_lo
	v_and_b32_e32 v7, 0x7f800000, v11
	v_cmpx_ne_u64_e32 0x7f800000, v[7:8]
	s_cbranch_execz .LBB0_80
; %bb.67:
	v_and_b32_e32 v5, 0x7fffffff, v11
	v_mov_b32_e32 v6, 0
	s_mov_b32 s0, exec_lo
	v_cmpx_gt_u64_e32 0x43700001, v[5:6]
	s_xor_b32 s4, exec_lo, s0
	s_cbranch_execz .LBB0_77
; %bb.68:
	s_mov_b32 s5, exec_lo
	v_cmpx_ne_u32_e32 0, v11
	s_cbranch_execz .LBB0_76
; %bb.69:
	v_bfe_u32 v12, v11, 23, 8
	v_sub_nc_u32_e32 v5, 0x78, v12
	v_cmp_gt_u32_e32 vcc_lo, 0x79, v12
	v_cndmask_b32_e32 v5, 0, v5, vcc_lo
	v_cmp_eq_u32_e32 vcc_lo, 0, v12
	v_cndmask_b32_e64 v13, v5, 0x77, vcc_lo
	v_and_b32_e32 v5, 0x7fffff, v11
	v_add_nc_u32_e32 v6, 20, v13
	v_or_b32_e32 v9, 0x800000, v5
	v_add_nc_u32_e32 v10, 19, v13
	v_lshlrev_b64 v[7:8], v6, -1
	v_cndmask_b32_e32 v5, v9, v5, vcc_lo
	v_mov_b32_e32 v6, 0
	v_lshlrev_b64 v[9:10], v10, 1
	v_bfi_b32 v15, v8, 0, 0
	v_bfi_b32 v14, v7, 0, v5
	v_lshrrev_b64 v[7:8], v13, v[5:6]
	v_cmp_eq_u64_e64 s0, v[14:15], v[9:10]
	v_mov_b32_e32 v10, v8
	v_mov_b32_e32 v9, v7
	s_and_saveexec_b32 s6, s0
; %bb.70:
	v_bfe_u32 v5, v7, 20, 1
	v_add_co_u32 v5, s0, v7, v5
	v_add_co_ci_u32_e64 v8, null, 0, v8, s0
	v_add_co_u32 v9, s0, v5, -1
	v_add_co_ci_u32_e64 v5, null, -1, v8, s0
; %bb.71:
	s_or_b32 exec_lo, exec_lo, s6
	v_add_nc_u32_e32 v5, 0xffffff81, v12
	v_lshrrev_b32_e32 v8, 23, v7
	s_mov_b32 s0, exec_lo
	v_cndmask_b32_e64 v5, v5, 0xffffff82, vcc_lo
	v_add3_u32 v8, v13, v5, v8
	v_and_b32_e32 v5, 0xfffff, v9
	v_add_nc_u32_e32 v9, 7, v8
	v_add_nc_u32_e32 v5, v5, v7
                                        ; implicit-def: $vgpr7
	v_cmpx_ne_u32_e32 0, v9
	s_xor_b32 s0, exec_lo, s0
; %bb.72:
	v_cmp_lt_u64_e32 vcc_lo, 0xffffff, v[5:6]
	v_add_nc_u32_e32 v7, 8, v8
	v_cndmask_b32_e64 v8, 0, 1, vcc_lo
	v_cndmask_b32_e32 v7, v9, v7, vcc_lo
	v_lshrrev_b64 v[5:6], v8, v[5:6]
; %bb.73:
	s_andn2_saveexec_b32 s0, s0
; %bb.74:
	v_bfe_u32 v7, v5, 23, 1
; %bb.75:
	s_or_b32 exec_lo, exec_lo, s0
	v_lshrrev_b64 v[5:6], 20, v[5:6]
	v_cmp_gt_i32_e32 vcc_lo, 16, v7
	v_min_i32_e32 v8, 15, v7
	v_mov_b32_e32 v9, 0x80
	v_cmp_eq_u32_e64 s0, 0, v7
	v_cndmask_b32_e32 v5, 7, v5, vcc_lo
	v_lshlrev_b32_e32 v8, 3, v8
	v_cndmask_b32_e32 v6, 0, v6, vcc_lo
	v_and_b32_sdwa v9, v11, v9 dst_sel:DWORD dst_unused:UNUSED_PAD src0_sel:BYTE_3 src1_sel:DWORD
	v_and_b32_e32 v10, 7, v5
	v_and_b32_e32 v8, 0xf8, v8
	v_cmp_eq_u64_e32 vcc_lo, 0, v[5:6]
	v_or3_b32 v5, v8, v9, v10
	s_and_b32 s0, s0, vcc_lo
	v_cndmask_b32_e64 v6, v5, 0, s0
.LBB0_76:
	s_or_b32 exec_lo, exec_lo, s5
                                        ; implicit-def: $vgpr11
.LBB0_77:
	s_andn2_saveexec_b32 s0, s4
; %bb.78:
	v_mov_b32_e32 v5, 0x7f
	v_or_b32_sdwa v6, v11, v5 dst_sel:DWORD dst_unused:UNUSED_PAD src0_sel:BYTE_3 src1_sel:DWORD
; %bb.79:
	s_or_b32 exec_lo, exec_lo, s0
.LBB0_80:
	s_or_b32 exec_lo, exec_lo, s1
	v_mad_u32_u24 v1, v1, 3, v2
	v_lshlrev_b32_e32 v2, 24, v3
	v_lshlrev_b32_e32 v3, 16, v6
	v_lshl_or_b32 v4, v16, 8, v4
	s_add_u32 s0, s8, s2
	v_mad_u64_u32 v[0:1], null, s3, v1, v[0:1]
	v_mov_b32_e32 v1, 0
	s_addc_u32 s1, s9, 0
	v_or3_b32 v2, v4, v2, v3
	v_lshlrev_b64 v[0:1], 2, v[0:1]
	v_add_co_u32 v0, vcc_lo, s0, v0
	v_add_co_ci_u32_e64 v1, null, s1, v1, vcc_lo
	global_store_dword v[0:1], v2, off
	s_endpgm
	.section	.rodata,"a",@progbits
	.p2align	6, 0x0
	.amdhsa_kernel _Z22FP8TrtAddQKVBiasKernel21FP8TrtAddQKVBiasParamI19__hip_fp8_e4m3_fnuz14__hip_bfloat16E
		.amdhsa_group_segment_fixed_size 0
		.amdhsa_private_segment_fixed_size 0
		.amdhsa_kernarg_size 56
		.amdhsa_user_sgpr_count 6
		.amdhsa_user_sgpr_private_segment_buffer 1
		.amdhsa_user_sgpr_dispatch_ptr 0
		.amdhsa_user_sgpr_queue_ptr 0
		.amdhsa_user_sgpr_kernarg_segment_ptr 1
		.amdhsa_user_sgpr_dispatch_id 0
		.amdhsa_user_sgpr_flat_scratch_init 0
		.amdhsa_user_sgpr_private_segment_size 0
		.amdhsa_wavefront_size32 1
		.amdhsa_uses_dynamic_stack 0
		.amdhsa_system_sgpr_private_segment_wavefront_offset 0
		.amdhsa_system_sgpr_workgroup_id_x 1
		.amdhsa_system_sgpr_workgroup_id_y 0
		.amdhsa_system_sgpr_workgroup_id_z 0
		.amdhsa_system_sgpr_workgroup_info 0
		.amdhsa_system_vgpr_workitem_id 2
		.amdhsa_next_free_vgpr 20
		.amdhsa_next_free_sgpr 16
		.amdhsa_reserve_vcc 1
		.amdhsa_reserve_flat_scratch 0
		.amdhsa_float_round_mode_32 0
		.amdhsa_float_round_mode_16_64 0
		.amdhsa_float_denorm_mode_32 3
		.amdhsa_float_denorm_mode_16_64 3
		.amdhsa_dx10_clamp 1
		.amdhsa_ieee_mode 1
		.amdhsa_fp16_overflow 0
		.amdhsa_workgroup_processor_mode 1
		.amdhsa_memory_ordered 1
		.amdhsa_forward_progress 1
		.amdhsa_shared_vgpr_count 0
		.amdhsa_exception_fp_ieee_invalid_op 0
		.amdhsa_exception_fp_denorm_src 0
		.amdhsa_exception_fp_ieee_div_zero 0
		.amdhsa_exception_fp_ieee_overflow 0
		.amdhsa_exception_fp_ieee_underflow 0
		.amdhsa_exception_fp_ieee_inexact 0
		.amdhsa_exception_int_div_zero 0
	.end_amdhsa_kernel
	.text
.Lfunc_end0:
	.size	_Z22FP8TrtAddQKVBiasKernel21FP8TrtAddQKVBiasParamI19__hip_fp8_e4m3_fnuz14__hip_bfloat16E, .Lfunc_end0-_Z22FP8TrtAddQKVBiasKernel21FP8TrtAddQKVBiasParamI19__hip_fp8_e4m3_fnuz14__hip_bfloat16E
                                        ; -- End function
	.set _Z22FP8TrtAddQKVBiasKernel21FP8TrtAddQKVBiasParamI19__hip_fp8_e4m3_fnuz14__hip_bfloat16E.num_vgpr, 20
	.set _Z22FP8TrtAddQKVBiasKernel21FP8TrtAddQKVBiasParamI19__hip_fp8_e4m3_fnuz14__hip_bfloat16E.num_agpr, 0
	.set _Z22FP8TrtAddQKVBiasKernel21FP8TrtAddQKVBiasParamI19__hip_fp8_e4m3_fnuz14__hip_bfloat16E.numbered_sgpr, 16
	.set _Z22FP8TrtAddQKVBiasKernel21FP8TrtAddQKVBiasParamI19__hip_fp8_e4m3_fnuz14__hip_bfloat16E.num_named_barrier, 0
	.set _Z22FP8TrtAddQKVBiasKernel21FP8TrtAddQKVBiasParamI19__hip_fp8_e4m3_fnuz14__hip_bfloat16E.private_seg_size, 0
	.set _Z22FP8TrtAddQKVBiasKernel21FP8TrtAddQKVBiasParamI19__hip_fp8_e4m3_fnuz14__hip_bfloat16E.uses_vcc, 1
	.set _Z22FP8TrtAddQKVBiasKernel21FP8TrtAddQKVBiasParamI19__hip_fp8_e4m3_fnuz14__hip_bfloat16E.uses_flat_scratch, 0
	.set _Z22FP8TrtAddQKVBiasKernel21FP8TrtAddQKVBiasParamI19__hip_fp8_e4m3_fnuz14__hip_bfloat16E.has_dyn_sized_stack, 0
	.set _Z22FP8TrtAddQKVBiasKernel21FP8TrtAddQKVBiasParamI19__hip_fp8_e4m3_fnuz14__hip_bfloat16E.has_recursion, 0
	.set _Z22FP8TrtAddQKVBiasKernel21FP8TrtAddQKVBiasParamI19__hip_fp8_e4m3_fnuz14__hip_bfloat16E.has_indirect_call, 0
	.section	.AMDGPU.csdata,"",@progbits
; Kernel info:
; codeLenInByte = 3568
; TotalNumSgprs: 18
; NumVgprs: 20
; ScratchSize: 0
; MemoryBound: 0
; FloatMode: 240
; IeeeMode: 1
; LDSByteSize: 0 bytes/workgroup (compile time only)
; SGPRBlocks: 0
; VGPRBlocks: 2
; NumSGPRsForWavesPerEU: 18
; NumVGPRsForWavesPerEU: 20
; Occupancy: 16
; WaveLimiterHint : 0
; COMPUTE_PGM_RSRC2:SCRATCH_EN: 0
; COMPUTE_PGM_RSRC2:USER_SGPR: 6
; COMPUTE_PGM_RSRC2:TRAP_HANDLER: 0
; COMPUTE_PGM_RSRC2:TGID_X_EN: 1
; COMPUTE_PGM_RSRC2:TGID_Y_EN: 0
; COMPUTE_PGM_RSRC2:TGID_Z_EN: 0
; COMPUTE_PGM_RSRC2:TIDIG_COMP_CNT: 2
	.text
	.p2alignl 6, 3214868480
	.fill 48, 4, 3214868480
	.section	.AMDGPU.gpr_maximums,"",@progbits
	.set amdgpu.max_num_vgpr, 0
	.set amdgpu.max_num_agpr, 0
	.set amdgpu.max_num_sgpr, 0
	.text
	.type	__hip_cuid_669a3fe183f85307,@object ; @__hip_cuid_669a3fe183f85307
	.section	.bss,"aw",@nobits
	.globl	__hip_cuid_669a3fe183f85307
__hip_cuid_669a3fe183f85307:
	.byte	0                               ; 0x0
	.size	__hip_cuid_669a3fe183f85307, 1

	.ident	"AMD clang version 22.0.0git (https://github.com/RadeonOpenCompute/llvm-project roc-7.2.4 26084 f58b06dce1f9c15707c5f808fd002e18c2accf7e)"
	.section	".note.GNU-stack","",@progbits
	.addrsig
	.addrsig_sym __hip_cuid_669a3fe183f85307
	.amdgpu_metadata
---
amdhsa.kernels:
  - .args:
      - .offset:         0
        .size:           56
        .value_kind:     by_value
    .group_segment_fixed_size: 0
    .kernarg_segment_align: 8
    .kernarg_segment_size: 56
    .language:       OpenCL C
    .language_version:
      - 2
      - 0
    .max_flat_workgroup_size: 1024
    .name:           _Z22FP8TrtAddQKVBiasKernel21FP8TrtAddQKVBiasParamI19__hip_fp8_e4m3_fnuz14__hip_bfloat16E
    .private_segment_fixed_size: 0
    .sgpr_count:     18
    .sgpr_spill_count: 0
    .symbol:         _Z22FP8TrtAddQKVBiasKernel21FP8TrtAddQKVBiasParamI19__hip_fp8_e4m3_fnuz14__hip_bfloat16E.kd
    .uniform_work_group_size: 1
    .uses_dynamic_stack: false
    .vgpr_count:     20
    .vgpr_spill_count: 0
    .wavefront_size: 32
    .workgroup_processor_mode: 1
amdhsa.target:   amdgcn-amd-amdhsa--gfx1030
amdhsa.version:
  - 1
  - 2
...

	.end_amdgpu_metadata
